;; amdgpu-corpus repo=triton-lang/triton kind=triton arch=gfx90a opt=O3 lang=triton
	.amdgcn_target "amdgcn-amd-amdhsa--gfx90a"
	.amdhsa_code_object_version 5
	.text
	.globl	indirect_matmul_kernel          ; -- Begin function indirect_matmul_kernel
	.p2align	8
	.type	indirect_matmul_kernel,@function
indirect_matmul_kernel:                 ; @indirect_matmul_kernel
.Lfunc_begin0:
	.cfi_sections .debug_frame
	.cfi_startproc
; %bb.5:
	.file	1 "/root/src/amdgpu-assembly/repos/triton-lang__triton-aot" "indirect_matmul.py"
	.loc	1 8 0 prologue_end              ; indirect_matmul.py:8:0
	s_load_dwordx2 s[6:7], s[4:5], 0x0
	s_load_dwordx8 s[8:15], s[4:5], 0x8
	s_waitcnt lgkmcnt(0)
	s_branch .LBB0_0
	.loc	1 0 0 is_stmt 0                 ; :0:0
.Ltmp0:
	.p2align	8
; %bb.6:
.LBB0_0:
	s_load_dword s0, s[4:5], 0x38
.Ltmp1:
	.loc	1 26 35 is_stmt 1               ; indirect_matmul.py:26:35
	v_and_b32_e32 v37, 32, v0
	v_and_b32_e32 v60, 64, v0
	.loc	1 32 25                         ; indirect_matmul.py:32:25
	s_waitcnt lgkmcnt(0)
	s_cmp_lt_i32 s0, 1
	s_cbranch_scc1 .LBB0_3
; %bb.1:                                ; %.lr.ph
	.loc	1 23 40                         ; indirect_matmul.py:23:40
	v_and_b32_e32 v1, 63, v0
	s_load_dword s1, s[4:5], 0x28
	s_load_dwordx2 s[2:3], s[4:5], 0x30
	.loc	1 28 17                         ; indirect_matmul.py:28:17
	v_lshlrev_b32_e32 v2, 1, v1
	v_mov_b32_e32 v1, s11
	v_add_co_u32_e32 v34, vcc, s10, v2
	v_addc_co_u32_e32 v1, vcc, 0, v1, vcc
	.loc	1 29 17                         ; indirect_matmul.py:29:17
	v_mov_b32_e32 v3, s15
	v_add_co_u32_e32 v36, vcc, s14, v2
	.loc	1 23 40                         ; indirect_matmul.py:23:40
	v_and_b32_e32 v2, 0xc0, v0
	.loc	1 29 17                         ; indirect_matmul.py:29:17
	v_addc_co_u32_e32 v35, vcc, 0, v3, vcc
	.loc	1 23 27                         ; indirect_matmul.py:23:27
	v_lshrrev_b32_e32 v3, 4, v2
	s_waitcnt lgkmcnt(0)
	v_mov_b32_e32 v4, s3
	v_add_co_u32_e32 v3, vcc, s2, v3
	v_addc_co_u32_e32 v4, vcc, 0, v4, vcc
	s_movk_i32 s2, 0xf0
	v_add_co_u32_e32 v38, vcc, s2, v3
	v_lshlrev_b32_e32 v3, 7, v0
	v_addc_co_u32_e32 v39, vcc, 0, v4, vcc
	v_and_b32_e32 v4, 0x1800, v3
	v_add_u32_e32 v4, 0, v4
	v_lshl_add_u32 v4, v2, 2, v4
	v_lshlrev_b32_e32 v2, 5, v0
	v_and_b32_e32 v2, 0x1400, v2
	v_and_b32_e32 v3, 0x800, v3
	v_lshlrev_b32_e32 v6, 1, v0
	v_lshlrev_b32_e32 v5, 4, v0
	v_add3_u32 v3, 0, v2, v3
	v_and_b32_e32 v2, 62, v6
	v_lshlrev_b32_e32 v7, 4, v37
	v_and_b32_e32 v5, 0xf0, v5
	v_add3_u32 v7, 0, v7, v2
	v_mov_b32_e32 v2, 0
	s_mov_b32 s2, 0
	s_mov_b32 s3, 0x5040100
	v_add_u32_e32 v61, v4, v5
	v_add_u32_e32 v62, v3, v5
	;; [unrolled: 1-line block ×4, first 2 shown]
	s_mov_b32 s4, 0x7060302
	v_mov_b32_e32 v3, v2
	v_mov_b32_e32 v4, v2
	v_mov_b32_e32 v5, v2
	v_mov_b32_e32 v6, v2
	v_mov_b32_e32 v7, v2
	v_mov_b32_e32 v8, v2
	v_mov_b32_e32 v9, v2
	v_mov_b32_e32 v10, v2
	v_mov_b32_e32 v11, v2
	v_mov_b32_e32 v12, v2
	v_mov_b32_e32 v13, v2
	v_mov_b32_e32 v14, v2
	v_mov_b32_e32 v15, v2
	v_mov_b32_e32 v16, v2
	v_mov_b32_e32 v17, v2
.LBB0_2:                                ; =>This Inner Loop Header: Depth=1
	.loc	1 33 22                         ; indirect_matmul.py:33:22
	global_load_dword v19, v[38:39], off offset:-240
	global_load_dword v21, v[38:39], off offset:-224
	global_load_dword v23, v[38:39], off offset:-208
	global_load_dword v25, v[38:39], off offset:-192
	global_load_dword v27, v[38:39], off offset:-176
	global_load_dword v29, v[38:39], off offset:-160
	global_load_dword v31, v[38:39], off offset:-144
	global_load_dword v33, v[38:39], off offset:-128
	global_load_dword v41, v[38:39], off offset:-112
	global_load_dword v43, v[38:39], off offset:-96
	global_load_dword v45, v[38:39], off offset:-80
	global_load_dword v47, v[38:39], off offset:-64
	global_load_dword v49, v[38:39], off offset:-48
	global_load_dword v51, v[38:39], off offset:-32
	global_load_dword v53, v[38:39], off offset:-16
	global_load_dword v55, v[38:39], off
	.loc	1 32 25                         ; indirect_matmul.py:32:25
	s_add_i32 s2, s2, 64
	s_cmp_lt_i32 s2, s0
	.loc	1 35 44                         ; indirect_matmul.py:35:44
	s_waitcnt vmcnt(15)
	v_mul_lo_u32 v18, v19, s12
	.loc	1 36 44                         ; indirect_matmul.py:36:44
	v_mul_lo_u32 v56, v19, s1
	.loc	1 35 29                         ; indirect_matmul.py:35:29
	v_ashrrev_i32_e32 v19, 31, v18
	.loc	1 35 44 is_stmt 0               ; indirect_matmul.py:35:44
	s_waitcnt vmcnt(14)
	v_mul_lo_u32 v20, v21, s12
	.loc	1 35 29                         ; indirect_matmul.py:35:29
	v_lshlrev_b64 v[18:19], 1, v[18:19]
	.loc	1 36 44 is_stmt 1               ; indirect_matmul.py:36:44
	v_mul_lo_u32 v58, v21, s1
	.loc	1 35 29                         ; indirect_matmul.py:35:29
	v_ashrrev_i32_e32 v21, 31, v20
	v_add_co_u32_e32 v18, vcc, v34, v18
	.loc	1 35 44 is_stmt 0               ; indirect_matmul.py:35:44
	s_waitcnt vmcnt(13)
	v_mul_lo_u32 v22, v23, s12
	.loc	1 35 29                         ; indirect_matmul.py:35:29
	v_lshlrev_b64 v[20:21], 1, v[20:21]
	v_addc_co_u32_e32 v19, vcc, v1, v19, vcc
	.loc	1 36 44 is_stmt 1               ; indirect_matmul.py:36:44
	v_mul_lo_u32 v66, v23, s1
	.loc	1 35 29                         ; indirect_matmul.py:35:29
	v_ashrrev_i32_e32 v23, 31, v22
	v_add_co_u32_e32 v20, vcc, v34, v20
	.loc	1 35 44 is_stmt 0               ; indirect_matmul.py:35:44
	s_waitcnt vmcnt(12)
	v_mul_lo_u32 v24, v25, s12
	.loc	1 35 29                         ; indirect_matmul.py:35:29
	v_lshlrev_b64 v[22:23], 1, v[22:23]
	v_addc_co_u32_e32 v21, vcc, v1, v21, vcc
	;; [unrolled: 11-line block ×14, first 2 shown]
	.loc	1 36 44 is_stmt 1               ; indirect_matmul.py:36:44
	v_mul_lo_u32 v92, v55, s1
	.loc	1 35 29                         ; indirect_matmul.py:35:29
	v_ashrrev_i32_e32 v55, 31, v54
	v_add_co_u32_e32 v52, vcc, v34, v52
	v_lshlrev_b64 v[54:55], 1, v[54:55]
	v_addc_co_u32_e32 v53, vcc, v1, v53, vcc
	.loc	1 36 29                         ; indirect_matmul.py:36:29
	v_ashrrev_i32_e32 v57, 31, v56
	.loc	1 35 29                         ; indirect_matmul.py:35:29
	v_add_co_u32_e32 v54, vcc, v34, v54
	.loc	1 36 29                         ; indirect_matmul.py:36:29
	v_lshlrev_b64 v[56:57], 1, v[56:57]
	.loc	1 35 29                         ; indirect_matmul.py:35:29
	v_addc_co_u32_e32 v55, vcc, v1, v55, vcc
	.loc	1 36 29                         ; indirect_matmul.py:36:29
	v_ashrrev_i32_e32 v59, 31, v58
	v_add_co_u32_e32 v56, vcc, v36, v56
	v_lshlrev_b64 v[58:59], 1, v[58:59]
	v_addc_co_u32_e32 v57, vcc, v35, v57, vcc
	v_ashrrev_i32_e32 v67, 31, v66
	v_add_co_u32_e32 v58, vcc, v36, v58
	v_lshlrev_b64 v[66:67], 1, v[66:67]
	v_addc_co_u32_e32 v59, vcc, v35, v59, vcc
	;; [unrolled: 4-line block ×15, first 2 shown]
	v_add_co_u32_e32 v92, vcc, v36, v92
	v_addc_co_u32_e32 v93, vcc, v35, v93, vcc
	.loc	1 36 20 is_stmt 0               ; indirect_matmul.py:36:20
	global_load_ushort v65, v[78:79], off
	global_load_ushort v94, v[80:81], off
	;; [unrolled: 1-line block ×15, first 2 shown]
                                        ; kill: killed $vgpr78 killed $vgpr79
                                        ; kill: killed $vgpr80 killed $vgpr81
                                        ; kill: killed $vgpr56 killed $vgpr57
                                        ; kill: killed $vgpr82 killed $vgpr83
                                        ; kill: killed $vgpr84 killed $vgpr85
                                        ; kill: killed $vgpr66 killed $vgpr67
                                        ; kill: killed $vgpr86 killed $vgpr87
                                        ; kill: killed $vgpr68 killed $vgpr69
                                        ; kill: killed $vgpr88 killed $vgpr89
                                        ; kill: killed $vgpr70 killed $vgpr71
                                        ; kill: killed $vgpr90 killed $vgpr91
                                        ; kill: killed $vgpr72 killed $vgpr73
                                        ; kill: killed $vgpr92 killed $vgpr93
                                        ; kill: killed $vgpr74 killed $vgpr75
                                        ; kill: killed $vgpr76 killed $vgpr77
	global_load_ushort v56, v[58:59], off
	.loc	1 35 20 is_stmt 1               ; indirect_matmul.py:35:20
	global_load_ushort v57, v[18:19], off
	global_load_ushort v66, v[20:21], off
	;; [unrolled: 1-line block ×3, first 2 shown]
	s_nop 0
	global_load_ushort v68, v[24:25], off
	global_load_ushort v69, v[26:27], off
	;; [unrolled: 1-line block ×11, first 2 shown]
                                        ; kill: killed $vgpr46 killed $vgpr47
                                        ; kill: killed $vgpr22 killed $vgpr23
                                        ; kill: killed $vgpr48 killed $vgpr49
                                        ; kill: killed $vgpr24 killed $vgpr25
                                        ; kill: killed $vgpr58 killed $vgpr59
                                        ; kill: killed $vgpr50 killed $vgpr51
                                        ; kill: killed $vgpr26 killed $vgpr27
                                        ; kill: killed $vgpr28 killed $vgpr29
                                        ; kill: killed $vgpr30 killed $vgpr31
                                        ; kill: killed $vgpr32 killed $vgpr33
                                        ; kill: killed $vgpr40 killed $vgpr41
                                        ; kill: killed $vgpr42 killed $vgpr43
                                        ; kill: killed $vgpr18 killed $vgpr19
                                        ; kill: killed $vgpr44 killed $vgpr45
                                        ; kill: killed $vgpr20 killed $vgpr21
	global_load_ushort v40, v[52:53], off
	global_load_ushort v41, v[54:55], off
	.loc	1 38 21                         ; indirect_matmul.py:38:21
	s_waitcnt lgkmcnt(0)
	s_barrier
	.loc	1 39 22                         ; indirect_matmul.py:39:22
	v_add_co_u32_e32 v38, vcc, 0x100, v38
	v_addc_co_u32_e32 v39, vcc, 0, v39, vcc
	.loc	1 38 21                         ; indirect_matmul.py:38:21
	s_waitcnt vmcnt(29)
	v_perm_b32 v20, v95, v65, s3
	s_waitcnt vmcnt(28)
	v_perm_b32 v24, v96, v94, s3
	;; [unrolled: 2-line block ×8, first 2 shown]
	ds_write_b128 v61, v[18:21]
	ds_write_b128 v61, v[22:25] offset:1024
	s_waitcnt lgkmcnt(0)
	s_barrier
	ds_read_b128 v[18:21], v62
	ds_read_b128 v[22:25], v62 offset:256
	ds_read_b128 v[26:29], v62 offset:512
	;; [unrolled: 1-line block ×3, first 2 shown]
	.loc	1 35 20                         ; indirect_matmul.py:35:20
	s_waitcnt lgkmcnt(0)
	s_barrier
	s_waitcnt vmcnt(15)
	ds_write_b16 v63, v57
	s_waitcnt vmcnt(14)
	ds_write_b16 v63, v66 offset:512
	s_waitcnt vmcnt(13)
	ds_write_b16 v63, v67 offset:1024
	;; [unrolled: 2-line block ×15, first 2 shown]
	s_waitcnt lgkmcnt(0)
	s_barrier
	ds_read_u16 v40, v64
	ds_read_u16 v41, v64 offset:256
	ds_read_u16 v42, v64 offset:384
	;; [unrolled: 1-line block ×6, first 2 shown]
	.loc	1 38 26                         ; indirect_matmul.py:38:26
	s_waitcnt lgkmcnt(4)
	v_perm_b32 v41, v42, v41, s3
	v_perm_b32 v42, v22, v18, s3
	s_waitcnt lgkmcnt(0)
	v_perm_b32 v40, v43, v40, s3
	v_perm_b32 v43, v30, v26, s3
	s_nop 1
	v_mfma_f32_32x32x8f16 v[2:17], v[40:41], v[42:43], v[2:17]
	.loc	1 35 20                         ; indirect_matmul.py:35:20
	ds_read_u16 v40, v64 offset:1280
	.loc	1 38 26                         ; indirect_matmul.py:38:26
	v_perm_b32 v42, v22, v18, s4
	v_perm_b32 v43, v30, v26, s4
	s_waitcnt lgkmcnt(0)
	v_perm_b32 v41, v45, v40, s3
	v_perm_b32 v40, v46, v44, s3
	.loc	1 35 20                         ; indirect_matmul.py:35:20
	ds_read_u16 v44, v64 offset:2048
	.loc	1 38 26                         ; indirect_matmul.py:38:26
	s_nop 0
	v_mfma_f32_32x32x8f16 v[2:17], v[40:41], v[42:43], v[2:17]
	.loc	1 35 20                         ; indirect_matmul.py:35:20
	ds_read_u16 v18, v64 offset:2304
	ds_read_u16 v22, v64 offset:2432
	;; [unrolled: 1-line block ×6, first 2 shown]
	.loc	1 38 26                         ; indirect_matmul.py:38:26
	s_waitcnt lgkmcnt(4)
	v_perm_b32 v41, v22, v18, s3
	.loc	1 35 20                         ; indirect_matmul.py:35:20
	ds_read_u16 v18, v64 offset:3328
	ds_read_u16 v22, v64 offset:4096
	.loc	1 38 26                         ; indirect_matmul.py:38:26
	v_perm_b32 v42, v23, v19, s3
	s_waitcnt lgkmcnt(2)
	v_perm_b32 v40, v40, v44, s3
	v_perm_b32 v43, v31, v27, s3
	s_nop 1
	v_mfma_f32_32x32x8f16 v[2:17], v[40:41], v[42:43], v[2:17]
	s_waitcnt lgkmcnt(1)
	v_perm_b32 v41, v30, v18, s3
	v_perm_b32 v40, v45, v26, s3
	;; [unrolled: 1-line block ×4, first 2 shown]
	s_nop 1
	v_mfma_f32_32x32x8f16 v[2:17], v[40:41], v[18:19], v[2:17]
	.loc	1 35 20                         ; indirect_matmul.py:35:20
	ds_read_u16 v18, v64 offset:4352
	ds_read_u16 v19, v64 offset:4480
	;; [unrolled: 1-line block ×6, first 2 shown]
	.loc	1 38 26                         ; indirect_matmul.py:38:26
	s_waitcnt lgkmcnt(4)
	v_perm_b32 v19, v19, v18, s3
	s_waitcnt lgkmcnt(0)
	v_perm_b32 v18, v23, v22, s3
	v_perm_b32 v22, v24, v20, s3
	;; [unrolled: 1-line block ×3, first 2 shown]
	s_nop 1
	v_mfma_f32_32x32x8f16 v[2:17], v[18:19], v[22:23], v[2:17]
	.loc	1 35 20                         ; indirect_matmul.py:35:20
	ds_read_u16 v18, v64 offset:5376
	.loc	1 38 26                         ; indirect_matmul.py:38:26
	v_perm_b32 v22, v24, v20, s4
	v_perm_b32 v23, v32, v28, s4
	s_waitcnt lgkmcnt(0)
	v_perm_b32 v19, v27, v18, s3
	v_perm_b32 v18, v30, v26, s3
	.loc	1 35 20                         ; indirect_matmul.py:35:20
	ds_read_u16 v26, v64 offset:6144
	.loc	1 38 26                         ; indirect_matmul.py:38:26
	s_nop 0
	v_mfma_f32_32x32x8f16 v[2:17], v[18:19], v[22:23], v[2:17]
	.loc	1 35 20                         ; indirect_matmul.py:35:20
	ds_read_u16 v18, v64 offset:6400
	ds_read_u16 v19, v64 offset:6528
	;; [unrolled: 1-line block ×6, first 2 shown]
	.loc	1 38 26                         ; indirect_matmul.py:38:26
	s_waitcnt lgkmcnt(4)
	v_perm_b32 v19, v19, v18, s3
	v_perm_b32 v23, v33, v29, s3
	s_waitcnt lgkmcnt(0)
	v_perm_b32 v18, v22, v26, s3
	v_perm_b32 v22, v25, v21, s3
	s_nop 1
	v_mfma_f32_32x32x8f16 v[2:17], v[18:19], v[22:23], v[2:17]
	.loc	1 35 20                         ; indirect_matmul.py:35:20
	ds_read_u16 v18, v64 offset:7424
	.loc	1 38 26                         ; indirect_matmul.py:38:26
	s_waitcnt lgkmcnt(0)
	v_perm_b32 v19, v24, v18, s3
	v_perm_b32 v18, v27, v20, s3
	;; [unrolled: 1-line block ×4, first 2 shown]
	s_nop 1
	v_mfma_f32_32x32x8f16 v[2:17], v[18:19], v[20:21], v[2:17]
	.loc	1 32 25                         ; indirect_matmul.py:32:25
	s_cbranch_scc1 .LBB0_2
	s_branch .LBB0_4
.LBB0_3:
	.loc	1 0 25 is_stmt 0                ; indirect_matmul.py:0:25
	v_mov_b32_e32 v17, 0
	v_mov_b32_e32 v16, v17
	v_mov_b32_e32 v15, v17
	v_mov_b32_e32 v14, v17
	v_mov_b32_e32 v13, v17
	v_mov_b32_e32 v12, v17
	v_mov_b32_e32 v11, v17
	v_mov_b32_e32 v10, v17
	v_mov_b32_e32 v9, v17
	v_mov_b32_e32 v8, v17
	v_mov_b32_e32 v7, v17
	v_mov_b32_e32 v6, v17
	v_mov_b32_e32 v5, v17
	v_mov_b32_e32 v4, v17
	v_mov_b32_e32 v3, v17
	v_mov_b32_e32 v2, v17
.LBB0_4:                                ; %._crit_edge
	.loc	1 42 28 is_stmt 1               ; indirect_matmul.py:42:28
	v_and_b32_e32 v33, 31, v0
	v_lshrrev_b32_e32 v0, 2, v0
	.loc	1 26 35                         ; indirect_matmul.py:26:35
	v_lshrrev_b32_e32 v1, 3, v37
	v_lshrrev_b32_e32 v18, 1, v60
	.loc	1 42 28                         ; indirect_matmul.py:42:28
	v_and_or_b32 v0, v0, 32, v33
	.loc	1 26 35                         ; indirect_matmul.py:26:35
	v_or_b32_e32 v1, v1, v18
	.loc	1 42 21                         ; indirect_matmul.py:42:21
	v_lshlrev_b32_e32 v0, 2, v0
	v_add_co_u32_e32 v48, vcc, s6, v0
	.loc	1 42 48 is_stmt 0               ; indirect_matmul.py:42:48
	v_mul_lo_u32 v0, v1, s8
	.loc	1 26 35 is_stmt 1               ; indirect_matmul.py:26:35
	v_or_b32_e32 v19, 27, v1
	v_or_b32_e32 v21, 26, v1
	;; [unrolled: 1-line block ×15, first 2 shown]
	.loc	1 42 21                         ; indirect_matmul.py:42:21
	v_mov_b32_e32 v33, s7
	.loc	1 42 39 is_stmt 0               ; indirect_matmul.py:42:39
	v_ashrrev_i32_e32 v1, 31, v0
	.loc	1 42 21                         ; indirect_matmul.py:42:21
	v_addc_co_u32_e32 v49, vcc, 0, v33, vcc
	.loc	1 42 48                         ; indirect_matmul.py:42:48
	v_mul_lo_u32 v18, v18, s8
	.loc	1 42 39                         ; indirect_matmul.py:42:39
	v_lshlrev_b64 v[0:1], 2, v[0:1]
	.loc	1 42 48                         ; indirect_matmul.py:42:48
	v_mul_lo_u32 v46, v19, s8
	.loc	1 42 39                         ; indirect_matmul.py:42:39
	v_add_co_u32_e32 v0, vcc, v48, v0
	v_ashrrev_i32_e32 v19, 31, v18
	.loc	1 42 48                         ; indirect_matmul.py:42:48
	v_mul_lo_u32 v20, v20, s8
	.loc	1 42 39                         ; indirect_matmul.py:42:39
	v_addc_co_u32_e32 v1, vcc, v49, v1, vcc
	v_lshlrev_b64 v[18:19], 2, v[18:19]
	.loc	1 42 48                         ; indirect_matmul.py:42:48
	v_mul_lo_u32 v44, v21, s8
	.loc	1 42 39                         ; indirect_matmul.py:42:39
	v_add_co_u32_e32 v18, vcc, v48, v18
	v_ashrrev_i32_e32 v21, 31, v20
	.loc	1 42 48                         ; indirect_matmul.py:42:48
	v_mul_lo_u32 v22, v22, s8
	.loc	1 42 39                         ; indirect_matmul.py:42:39
	v_addc_co_u32_e32 v19, vcc, v49, v19, vcc
	;; [unrolled: 10-line block ×7, first 2 shown]
	v_lshlrev_b64 v[30:31], 2, v[30:31]
	v_add_co_u32_e32 v30, vcc, v48, v30
	v_ashrrev_i32_e32 v33, 31, v32
	v_addc_co_u32_e32 v31, vcc, v49, v31, vcc
	v_lshlrev_b64 v[32:33], 2, v[32:33]
	v_add_co_u32_e32 v32, vcc, v48, v32
	v_ashrrev_i32_e32 v35, 31, v34
	v_addc_co_u32_e32 v33, vcc, v49, v33, vcc
	;; [unrolled: 4-line block ×8, first 2 shown]
	v_lshlrev_b64 v[46:47], 2, v[46:47]
	v_add_co_u32_e32 v46, vcc, v48, v46
	v_addc_co_u32_e32 v47, vcc, v49, v47, vcc
	.loc	1 43 23 is_stmt 1               ; indirect_matmul.py:43:23
	global_store_dword v[0:1], v2, off
	global_store_dword v[18:19], v3, off
	;; [unrolled: 1-line block ×16, first 2 shown]
	.loc	1 43 4 is_stmt 0                ; indirect_matmul.py:43:4
	s_endpgm
.Ltmp2:
	.section	.rodata,"a",@progbits
	.p2align	6, 0x0
	.amdhsa_kernel indirect_matmul_kernel
		.amdhsa_group_segment_fixed_size 0
		.amdhsa_private_segment_fixed_size 0
		.amdhsa_kernarg_size 80
		.amdhsa_user_sgpr_count 16
		.amdhsa_user_sgpr_private_segment_buffer 1
		.amdhsa_user_sgpr_dispatch_ptr 0
		.amdhsa_user_sgpr_queue_ptr 0
		.amdhsa_user_sgpr_kernarg_segment_ptr 1
		.amdhsa_user_sgpr_dispatch_id 0
		.amdhsa_user_sgpr_flat_scratch_init 0
		.amdhsa_user_sgpr_kernarg_preload_length 10
		.amdhsa_user_sgpr_kernarg_preload_offset 0
		.amdhsa_user_sgpr_private_segment_size 0
		.amdhsa_uses_dynamic_stack 0
		.amdhsa_system_sgpr_private_segment_wavefront_offset 0
		.amdhsa_system_sgpr_workgroup_id_x 1
		.amdhsa_system_sgpr_workgroup_id_y 0
		.amdhsa_system_sgpr_workgroup_id_z 0
		.amdhsa_system_sgpr_workgroup_info 0
		.amdhsa_system_vgpr_workitem_id 0
		.amdhsa_next_free_vgpr 108
		.amdhsa_next_free_sgpr 16
		.amdhsa_accum_offset 108
		.amdhsa_reserve_vcc 1
		.amdhsa_reserve_flat_scratch 0
		.amdhsa_reserve_xnack_mask 1
		.amdhsa_float_round_mode_32 0
		.amdhsa_float_round_mode_16_64 0
		.amdhsa_float_denorm_mode_32 3
		.amdhsa_float_denorm_mode_16_64 3
		.amdhsa_dx10_clamp 1
		.amdhsa_ieee_mode 1
		.amdhsa_fp16_overflow 0
		.amdhsa_tg_split 0
		.amdhsa_exception_fp_ieee_invalid_op 0
		.amdhsa_exception_fp_denorm_src 0
		.amdhsa_exception_fp_ieee_div_zero 0
		.amdhsa_exception_fp_ieee_overflow 0
		.amdhsa_exception_fp_ieee_underflow 0
		.amdhsa_exception_fp_ieee_inexact 0
		.amdhsa_exception_int_div_zero 0
	.end_amdhsa_kernel
	.text
.Lfunc_end0:
	.size	indirect_matmul_kernel, .Lfunc_end0-indirect_matmul_kernel
	.cfi_endproc
                                        ; -- End function
	.set indirect_matmul_kernel.num_vgpr, 108
	.set indirect_matmul_kernel.num_agpr, 0
	.set indirect_matmul_kernel.numbered_sgpr, 16
	.set indirect_matmul_kernel.num_named_barrier, 0
	.set indirect_matmul_kernel.private_seg_size, 0
	.set indirect_matmul_kernel.uses_vcc, 1
	.set indirect_matmul_kernel.uses_flat_scratch, 0
	.set indirect_matmul_kernel.has_dyn_sized_stack, 0
	.set indirect_matmul_kernel.has_recursion, 0
	.set indirect_matmul_kernel.has_indirect_call, 0
	.section	.AMDGPU.csdata,"",@progbits
; Kernel info:
; codeLenInByte = 3704
; TotalNumSgprs: 20
; NumVgprs: 108
; NumAgprs: 0
; TotalNumVgprs: 108
; ScratchSize: 0
; MemoryBound: 0
; FloatMode: 240
; IeeeMode: 1
; LDSByteSize: 0 bytes/workgroup (compile time only)
; SGPRBlocks: 2
; VGPRBlocks: 13
; NumSGPRsForWavesPerEU: 20
; NumVGPRsForWavesPerEU: 108
; AccumOffset: 108
; Occupancy: 4
; WaveLimiterHint : 1
; COMPUTE_PGM_RSRC2:SCRATCH_EN: 0
; COMPUTE_PGM_RSRC2:USER_SGPR: 16
; COMPUTE_PGM_RSRC2:TRAP_HANDLER: 0
; COMPUTE_PGM_RSRC2:TGID_X_EN: 1
; COMPUTE_PGM_RSRC2:TGID_Y_EN: 0
; COMPUTE_PGM_RSRC2:TGID_Z_EN: 0
; COMPUTE_PGM_RSRC2:TIDIG_COMP_CNT: 0
; COMPUTE_PGM_RSRC3_GFX90A:ACCUM_OFFSET: 26
; COMPUTE_PGM_RSRC3_GFX90A:TG_SPLIT: 0
	.text
	.p2alignl 6, 3212836864
	.fill 256, 4, 3212836864
	.section	.AMDGPU.gpr_maximums,"",@progbits
	.set amdgpu.max_num_vgpr, 0
	.set amdgpu.max_num_agpr, 0
	.set amdgpu.max_num_sgpr, 0
	.set amdgpu.max_num_named_barrier, 0
	.text
	.section	.debug_abbrev,"",@progbits
	.byte	1                               ; Abbreviation Code
	.byte	17                              ; DW_TAG_compile_unit
	.byte	0                               ; DW_CHILDREN_no
	.byte	37                              ; DW_AT_producer
	.byte	14                              ; DW_FORM_strp
	.byte	19                              ; DW_AT_language
	.byte	5                               ; DW_FORM_data2
	.byte	3                               ; DW_AT_name
	.byte	14                              ; DW_FORM_strp
	.byte	16                              ; DW_AT_stmt_list
	.byte	23                              ; DW_FORM_sec_offset
	.byte	27                              ; DW_AT_comp_dir
	.byte	14                              ; DW_FORM_strp
	.byte	17                              ; DW_AT_low_pc
	.byte	1                               ; DW_FORM_addr
	.byte	18                              ; DW_AT_high_pc
	.byte	6                               ; DW_FORM_data4
	.byte	0                               ; EOM(1)
	.byte	0                               ; EOM(2)
	;; [unrolled: 1-line block ×3, first 2 shown]
	.section	.debug_info,"",@progbits
.Lcu_begin0:
	.long	.Ldebug_info_end0-.Ldebug_info_start0 ; Length of Unit
.Ldebug_info_start0:
	.short	4                               ; DWARF version number
	.long	.debug_abbrev                   ; Offset Into Abbrev. Section
	.byte	8                               ; Address Size (in bytes)
	.byte	1                               ; Abbrev [1] 0xb:0x1f DW_TAG_compile_unit
	.long	.Linfo_string0                  ; DW_AT_producer
	.short	2                               ; DW_AT_language
	.long	.Linfo_string1                  ; DW_AT_name
	.long	.Lline_table_start0             ; DW_AT_stmt_list
	.long	.Linfo_string2                  ; DW_AT_comp_dir
	.quad	.Lfunc_begin0                   ; DW_AT_low_pc
	.long	.Lfunc_end0-.Lfunc_begin0       ; DW_AT_high_pc
.Ldebug_info_end0:
	.section	.debug_str,"MS",@progbits,1
.Linfo_string0:
	.asciz	"triton"                        ; string offset=0
.Linfo_string1:
	.asciz	"indirect_matmul.py"            ; string offset=7
.Linfo_string2:
	.asciz	"/root/src/amdgpu-assembly/repos/triton-lang__triton-aot" ; string offset=26
	.section	".note.GNU-stack","",@progbits
	.amdgpu_metadata
---
amdhsa.kernels:
  - .agpr_count:     0
    .args:
      - .address_space:  global
        .offset:         0
        .size:           8
        .value_kind:     global_buffer
      - .offset:         8
        .size:           4
        .value_kind:     by_value
      - .address_space:  global
        .offset:         16
        .size:           8
        .value_kind:     global_buffer
      - .offset:         24
        .size:           4
        .value_kind:     by_value
      - .address_space:  global
        .offset:         32
        .size:           8
        .value_kind:     global_buffer
      - .offset:         40
        .size:           4
        .value_kind:     by_value
      - .address_space:  global
        .offset:         48
        .size:           8
        .value_kind:     global_buffer
      - .offset:         56
        .size:           4
        .value_kind:     by_value
      - .address_space:  global
        .offset:         64
        .size:           8
        .value_kind:     global_buffer
      - .address_space:  global
        .offset:         72
        .size:           8
        .value_kind:     global_buffer
    .group_segment_fixed_size: 0
    .kernarg_segment_align: 8
    .kernarg_segment_size: 80
    .max_flat_workgroup_size: 256
    .name:           indirect_matmul_kernel
    .private_segment_fixed_size: 0
    .sgpr_count:     20
    .sgpr_spill_count: 0
    .symbol:         indirect_matmul_kernel.kd
    .uniform_work_group_size: 1
    .uses_dynamic_stack: false
    .vgpr_count:     108
    .vgpr_spill_count: 0
    .wavefront_size: 64
amdhsa.target:   amdgcn-amd-amdhsa--gfx90a
amdhsa.version:
  - 1
  - 2
...

	.end_amdgpu_metadata
	.section	.debug_line,"",@progbits
.Lline_table_start0:
